;; amdgpu-corpus repo=ROCm/rocPRIM kind=compiled arch=gfx1100 opt=O3
	.text
	.amdgcn_target "amdgcn-amd-amdhsa--gfx1100"
	.amdhsa_code_object_version 6
	.protected	_Z11test_globalPoPbPKjm ; -- Begin function _Z11test_globalPoPbPKjm
	.globl	_Z11test_globalPoPbPKjm
	.p2align	8
	.type	_Z11test_globalPoPbPKjm,@function
_Z11test_globalPoPbPKjm:                ; @_Z11test_globalPoPbPKjm
; %bb.0:
	s_load_b256 s[4:11], s[0:1], 0x0
	s_add_u32 s0, s0, 32
	s_addc_u32 s1, s1, 0
	v_mov_b32_e32 v8, 0
	s_waitcnt lgkmcnt(0)
	v_cvt_f32_u32_e32 v1, s10
	v_mov_b32_e32 v6, s5
	s_sub_i32 s2, 0, s10
	v_mov_b32_e32 v5, s4
	s_delay_alu instid0(VALU_DEP_3) | instskip(SKIP_2) | instid1(VALU_DEP_1)
	v_rcp_iflag_f32_e32 v1, v1
	s_waitcnt_depctr 0xfff
	v_mul_f32_e32 v1, 0x4f7ffffe, v1
	v_cvt_u32_f32_e32 v1, v1
	s_delay_alu instid0(VALU_DEP_1) | instskip(SKIP_1) | instid1(VALU_DEP_1)
	v_mul_lo_u32 v2, s2, v1
	s_mov_b32 s2, 0
	v_mul_hi_u32 v2, v1, v2
	s_delay_alu instid0(VALU_DEP_1)
	v_dual_mov_b32 v9, 1 :: v_dual_add_nc_u32 v10, v1, v2
	s_branch .LBB0_2
.LBB0_1:                                ;   in Loop: Header=BB0_2 Depth=1
	s_or_b32 exec_lo, exec_lo, s3
	s_delay_alu instid0(VALU_DEP_1) | instskip(SKIP_2) | instid1(SALU_CYCLE_1)
	v_lshl_add_u32 v7, v1, 1, v1
	v_mov_b32_e32 v3, v8
	s_add_i32 s2, s2, 1
	s_cmpk_lg_i32 s2, 0x3e8
	s_delay_alu instid0(VALU_DEP_2) | instskip(SKIP_2) | instid1(VALU_DEP_3)
	v_add_nc_u32_e32 v2, 1, v7
	v_lshlrev_b64 v[11:12], 2, v[7:8]
	v_add_nc_u32_e32 v7, 2, v7
	v_lshlrev_b64 v[2:3], 2, v[2:3]
	s_delay_alu instid0(VALU_DEP_2) | instskip(NEXT) | instid1(VALU_DEP_4)
	v_lshlrev_b64 v[13:14], 2, v[7:8]
	v_add_co_u32 v11, vcc_lo, s8, v11
	v_add_co_ci_u32_e32 v12, vcc_lo, s9, v12, vcc_lo
	s_delay_alu instid0(VALU_DEP_4)
	v_add_co_u32 v2, vcc_lo, s8, v2
	v_add_co_ci_u32_e32 v3, vcc_lo, s9, v3, vcc_lo
	v_add_co_u32 v15, vcc_lo, s8, v13
	v_add_co_ci_u32_e32 v16, vcc_lo, s9, v14, vcc_lo
	v_mov_b32_e32 v14, v1
	s_clause 0x2
	global_load_b32 v13, v[11:12], off
	global_load_b32 v12, v[2:3], off
	;; [unrolled: 1-line block ×3, first 2 shown]
	s_waitcnt vmcnt(0)
	;;#ASMSTART
	global_store_dwordx4 v[5:6], v[11:14] off	
s_waitcnt vmcnt(0)
	;;#ASMEND
	s_cbranch_scc0 .LBB0_10
.LBB0_2:                                ; =>This Inner Loop Header: Depth=1
	;;#ASMSTART
	global_load_dwordx4 v[1:4], v[5:6] off glc	
s_waitcnt vmcnt(0)
	;;#ASMEND
	v_lshl_add_u32 v7, v4, 1, v4
	s_mov_b32 s4, exec_lo
	s_delay_alu instid0(VALU_DEP_1) | instskip(NEXT) | instid1(VALU_DEP_1)
	v_lshlrev_b64 v[11:12], 2, v[7:8]
	v_add_co_u32 v11, vcc_lo, s8, v11
	s_delay_alu instid0(VALU_DEP_2)
	v_add_co_ci_u32_e32 v12, vcc_lo, s9, v12, vcc_lo
	global_load_b32 v4, v[11:12], off
	s_waitcnt vmcnt(0)
	v_cmp_ne_u32_e64 s3, v4, v3
	v_cmpx_eq_u32_e64 v4, v3
	s_cbranch_execz .LBB0_6
; %bb.3:                                ;   in Loop: Header=BB0_2 Depth=1
	v_dual_mov_b32 v4, v8 :: v_dual_add_nc_u32 v3, 1, v7
	s_mov_b32 s12, exec_lo
	s_delay_alu instid0(VALU_DEP_1) | instskip(NEXT) | instid1(VALU_DEP_1)
	v_lshlrev_b64 v[3:4], 2, v[3:4]
	v_add_co_u32 v3, vcc_lo, s8, v3
	s_delay_alu instid0(VALU_DEP_2)
	v_add_co_ci_u32_e32 v4, vcc_lo, s9, v4, vcc_lo
	global_load_b32 v3, v[3:4], off
	s_waitcnt vmcnt(0)
	v_cmp_ne_u32_e64 s5, v3, v2
	v_cmpx_eq_u32_e64 v3, v2
	s_cbranch_execz .LBB0_5
; %bb.4:                                ;   in Loop: Header=BB0_2 Depth=1
	v_add_nc_u32_e32 v7, 2, v7
	s_delay_alu instid0(VALU_DEP_3) | instskip(NEXT) | instid1(VALU_DEP_1)
	s_and_not1_b32 s5, s5, exec_lo
	v_lshlrev_b64 v[2:3], 2, v[7:8]
	s_delay_alu instid0(VALU_DEP_1) | instskip(NEXT) | instid1(VALU_DEP_2)
	v_add_co_u32 v2, vcc_lo, s8, v2
	v_add_co_ci_u32_e32 v3, vcc_lo, s9, v3, vcc_lo
	global_load_b32 v2, v[2:3], off
	s_waitcnt vmcnt(0)
	v_cmp_ne_u32_e32 vcc_lo, v2, v1
	s_and_b32 s13, vcc_lo, exec_lo
	s_delay_alu instid0(SALU_CYCLE_1)
	s_or_b32 s5, s5, s13
.LBB0_5:                                ;   in Loop: Header=BB0_2 Depth=1
	s_or_b32 exec_lo, exec_lo, s12
	s_delay_alu instid0(SALU_CYCLE_1) | instskip(SKIP_1) | instid1(SALU_CYCLE_1)
	s_and_not1_b32 s3, s3, exec_lo
	s_and_b32 s5, s5, exec_lo
	s_or_b32 s3, s3, s5
.LBB0_6:                                ;   in Loop: Header=BB0_2 Depth=1
	s_or_b32 exec_lo, exec_lo, s4
	s_delay_alu instid0(VALU_DEP_2)
	s_and_saveexec_b32 s4, s3
	s_cbranch_execz .LBB0_8
; %bb.7:                                ;   in Loop: Header=BB0_2 Depth=1
	global_store_b8 v8, v9, s[6:7]
.LBB0_8:                                ;   in Loop: Header=BB0_2 Depth=1
	s_or_b32 exec_lo, exec_lo, s4
	s_sleep 63
	s_load_b32 s3, s[0:1], 0xc
	s_waitcnt lgkmcnt(0)
	s_and_b32 s3, s3, 0xffff
	s_delay_alu instid0(SALU_CYCLE_1) | instskip(NEXT) | instid1(SALU_CYCLE_1)
	s_mul_i32 s3, s15, s3
	v_add3_u32 v7, s3, s2, v0
	s_mov_b32 s3, exec_lo
	s_delay_alu instid0(VALU_DEP_1)
	v_dual_mov_b32 v1, v7 :: v_dual_mov_b32 v2, v8
	v_cmpx_le_u64_e64 s[10:11], v[7:8]
	s_cbranch_execz .LBB0_1
; %bb.9:                                ;   in Loop: Header=BB0_2 Depth=1
	v_mul_hi_u32 v1, v7, v10
	s_delay_alu instid0(VALU_DEP_1) | instskip(NEXT) | instid1(VALU_DEP_1)
	v_mul_lo_u32 v1, v1, s10
	v_sub_nc_u32_e32 v1, v7, v1
	s_delay_alu instid0(VALU_DEP_1) | instskip(SKIP_1) | instid1(VALU_DEP_2)
	v_subrev_nc_u32_e32 v2, s10, v1
	v_cmp_le_u32_e32 vcc_lo, s10, v1
	v_cndmask_b32_e32 v1, v1, v2, vcc_lo
	s_delay_alu instid0(VALU_DEP_1) | instskip(SKIP_1) | instid1(VALU_DEP_2)
	v_subrev_nc_u32_e32 v2, s10, v1
	v_cmp_le_u32_e32 vcc_lo, s10, v1
	v_cndmask_b32_e32 v1, v1, v2, vcc_lo
	s_branch .LBB0_1
.LBB0_10:
	s_nop 0
	s_sendmsg sendmsg(MSG_DEALLOC_VGPRS)
	s_endpgm
	.section	.rodata,"a",@progbits
	.p2align	6, 0x0
	.amdhsa_kernel _Z11test_globalPoPbPKjm
		.amdhsa_group_segment_fixed_size 0
		.amdhsa_private_segment_fixed_size 0
		.amdhsa_kernarg_size 288
		.amdhsa_user_sgpr_count 15
		.amdhsa_user_sgpr_dispatch_ptr 0
		.amdhsa_user_sgpr_queue_ptr 0
		.amdhsa_user_sgpr_kernarg_segment_ptr 1
		.amdhsa_user_sgpr_dispatch_id 0
		.amdhsa_user_sgpr_private_segment_size 0
		.amdhsa_wavefront_size32 1
		.amdhsa_uses_dynamic_stack 0
		.amdhsa_enable_private_segment 0
		.amdhsa_system_sgpr_workgroup_id_x 1
		.amdhsa_system_sgpr_workgroup_id_y 0
		.amdhsa_system_sgpr_workgroup_id_z 0
		.amdhsa_system_sgpr_workgroup_info 0
		.amdhsa_system_vgpr_workitem_id 0
		.amdhsa_next_free_vgpr 17
		.amdhsa_next_free_sgpr 16
		.amdhsa_reserve_vcc 1
		.amdhsa_float_round_mode_32 0
		.amdhsa_float_round_mode_16_64 0
		.amdhsa_float_denorm_mode_32 3
		.amdhsa_float_denorm_mode_16_64 3
		.amdhsa_dx10_clamp 1
		.amdhsa_ieee_mode 1
		.amdhsa_fp16_overflow 0
		.amdhsa_workgroup_processor_mode 1
		.amdhsa_memory_ordered 1
		.amdhsa_forward_progress 0
		.amdhsa_shared_vgpr_count 0
		.amdhsa_exception_fp_ieee_invalid_op 0
		.amdhsa_exception_fp_denorm_src 0
		.amdhsa_exception_fp_ieee_div_zero 0
		.amdhsa_exception_fp_ieee_overflow 0
		.amdhsa_exception_fp_ieee_underflow 0
		.amdhsa_exception_fp_ieee_inexact 0
		.amdhsa_exception_int_div_zero 0
	.end_amdhsa_kernel
	.text
.Lfunc_end0:
	.size	_Z11test_globalPoPbPKjm, .Lfunc_end0-_Z11test_globalPoPbPKjm
                                        ; -- End function
	.section	.AMDGPU.csdata,"",@progbits
; Kernel info:
; codeLenInByte = 728
; NumSgprs: 18
; NumVgprs: 17
; ScratchSize: 0
; MemoryBound: 0
; FloatMode: 240
; IeeeMode: 1
; LDSByteSize: 0 bytes/workgroup (compile time only)
; SGPRBlocks: 2
; VGPRBlocks: 2
; NumSGPRsForWavesPerEU: 18
; NumVGPRsForWavesPerEU: 17
; Occupancy: 16
; WaveLimiterHint : 0
; COMPUTE_PGM_RSRC2:SCRATCH_EN: 0
; COMPUTE_PGM_RSRC2:USER_SGPR: 15
; COMPUTE_PGM_RSRC2:TRAP_HANDLER: 0
; COMPUTE_PGM_RSRC2:TGID_X_EN: 1
; COMPUTE_PGM_RSRC2:TGID_Y_EN: 0
; COMPUTE_PGM_RSRC2:TGID_Z_EN: 0
; COMPUTE_PGM_RSRC2:TIDIG_COMP_CNT: 0
	.text
	.protected	_Z11test_sharedPbPKjm   ; -- Begin function _Z11test_sharedPbPKjm
	.globl	_Z11test_sharedPbPKjm
	.p2align	8
	.type	_Z11test_sharedPbPKjm,@function
_Z11test_sharedPbPKjm:                  ; @_Z11test_sharedPbPKjm
; %bb.0:
	s_mov_b32 s8, 0
	s_mov_b32 s2, exec_lo
	v_cmpx_eq_u32_e32 0, v0
	s_cbranch_execz .LBB1_2
; %bb.1:
	v_mov_b32_e32 v1, 0
	s_delay_alu instid0(VALU_DEP_1)
	v_mov_b32_e32 v2, v1
	v_mov_b32_e32 v3, v1
	;; [unrolled: 1-line block ×3, first 2 shown]
	ds_store_b128 v1, v[1:4]
.LBB1_2:
	s_or_b32 exec_lo, exec_lo, s2
	s_load_b64 s[4:5], s[0:1], 0x10
	s_add_u32 s6, s0, 24
	s_addc_u32 s7, s1, 0
	v_mov_b32_e32 v5, 0
	s_waitcnt lgkmcnt(0)
	s_barrier
	buffer_gl0_inv
	v_mov_b32_e32 v6, 1
	v_cvt_f32_u32_e32 v1, s4
	s_sub_i32 s2, 0, s4
	s_delay_alu instid0(VALU_DEP_1) | instskip(SKIP_2) | instid1(VALU_DEP_1)
	v_rcp_iflag_f32_e32 v1, v1
	s_waitcnt_depctr 0xfff
	v_mul_f32_e32 v1, 0x4f7ffffe, v1
	v_cvt_u32_f32_e32 v1, v1
	s_delay_alu instid0(VALU_DEP_1) | instskip(SKIP_1) | instid1(VALU_DEP_1)
	v_mul_lo_u32 v2, s2, v1
	s_load_b128 s[0:3], s[0:1], 0x0
	v_mul_hi_u32 v2, v1, v2
	s_delay_alu instid0(VALU_DEP_1)
	v_add_nc_u32_e32 v7, v1, v2
	s_branch .LBB1_4
.LBB1_3:                                ;   in Loop: Header=BB1_4 Depth=1
	s_or_b32 exec_lo, exec_lo, s9
	s_delay_alu instid0(VALU_DEP_1) | instskip(SKIP_2) | instid1(SALU_CYCLE_1)
	v_lshl_add_u32 v4, v1, 1, v1
	v_mov_b32_e32 v3, v5
	s_add_i32 s8, s8, 1
	s_cmpk_lg_i32 s8, 0x3e8
	s_delay_alu instid0(VALU_DEP_2) | instskip(SKIP_2) | instid1(VALU_DEP_3)
	v_add_nc_u32_e32 v2, 1, v4
	v_lshlrev_b64 v[8:9], 2, v[4:5]
	v_add_nc_u32_e32 v4, 2, v4
	v_lshlrev_b64 v[2:3], 2, v[2:3]
	s_delay_alu instid0(VALU_DEP_2) | instskip(NEXT) | instid1(VALU_DEP_4)
	v_lshlrev_b64 v[10:11], 2, v[4:5]
	v_add_co_u32 v8, vcc_lo, s2, v8
	v_add_co_ci_u32_e32 v9, vcc_lo, s3, v9, vcc_lo
	s_delay_alu instid0(VALU_DEP_4)
	v_add_co_u32 v2, vcc_lo, s2, v2
	v_add_co_ci_u32_e32 v3, vcc_lo, s3, v3, vcc_lo
	v_add_co_u32 v12, vcc_lo, s2, v10
	v_add_co_ci_u32_e32 v13, vcc_lo, s3, v11, vcc_lo
	v_mov_b32_e32 v11, v1
	s_clause 0x2
	global_load_b32 v10, v[8:9], off
	global_load_b32 v9, v[2:3], off
	;; [unrolled: 1-line block ×3, first 2 shown]
	s_waitcnt vmcnt(0)
	;;#ASMSTART
	ds_write_b128 v5, v[8:11] 	
s_waitcnt lgkmcnt(0)
	;;#ASMEND
	s_cbranch_scc0 .LBB1_12
.LBB1_4:                                ; =>This Inner Loop Header: Depth=1
	;;#ASMSTART
	ds_read_b128 v[1:4], v5 	
s_waitcnt lgkmcnt(0)
	;;#ASMEND
	v_lshl_add_u32 v4, v4, 1, v4
	s_mov_b32 s10, exec_lo
	s_delay_alu instid0(VALU_DEP_1) | instskip(SKIP_1) | instid1(VALU_DEP_1)
	v_lshlrev_b64 v[8:9], 2, v[4:5]
	s_waitcnt lgkmcnt(0)
	v_add_co_u32 v8, vcc_lo, s2, v8
	s_delay_alu instid0(VALU_DEP_2)
	v_add_co_ci_u32_e32 v9, vcc_lo, s3, v9, vcc_lo
	global_load_b32 v8, v[8:9], off
	s_waitcnt vmcnt(0)
	v_cmp_ne_u32_e64 s9, v8, v3
	v_cmpx_eq_u32_e64 v8, v3
	s_cbranch_execz .LBB1_8
; %bb.5:                                ;   in Loop: Header=BB1_4 Depth=1
	v_dual_mov_b32 v9, v5 :: v_dual_add_nc_u32 v8, 1, v4
	s_mov_b32 s12, exec_lo
	s_delay_alu instid0(VALU_DEP_1) | instskip(NEXT) | instid1(VALU_DEP_1)
	v_lshlrev_b64 v[8:9], 2, v[8:9]
	v_add_co_u32 v8, vcc_lo, s2, v8
	s_delay_alu instid0(VALU_DEP_2)
	v_add_co_ci_u32_e32 v9, vcc_lo, s3, v9, vcc_lo
	global_load_b32 v3, v[8:9], off
	s_waitcnt vmcnt(0)
	v_cmp_ne_u32_e64 s11, v3, v2
	v_cmpx_eq_u32_e64 v3, v2
	s_cbranch_execz .LBB1_7
; %bb.6:                                ;   in Loop: Header=BB1_4 Depth=1
	v_add_nc_u32_e32 v4, 2, v4
	s_delay_alu instid0(VALU_DEP_3) | instskip(NEXT) | instid1(VALU_DEP_1)
	s_and_not1_b32 s11, s11, exec_lo
	v_lshlrev_b64 v[2:3], 2, v[4:5]
	s_delay_alu instid0(VALU_DEP_1) | instskip(NEXT) | instid1(VALU_DEP_2)
	v_add_co_u32 v2, vcc_lo, s2, v2
	v_add_co_ci_u32_e32 v3, vcc_lo, s3, v3, vcc_lo
	global_load_b32 v2, v[2:3], off
	s_waitcnt vmcnt(0)
	v_cmp_ne_u32_e32 vcc_lo, v2, v1
	s_and_b32 s13, vcc_lo, exec_lo
	s_delay_alu instid0(SALU_CYCLE_1)
	s_or_b32 s11, s11, s13
.LBB1_7:                                ;   in Loop: Header=BB1_4 Depth=1
	s_or_b32 exec_lo, exec_lo, s12
	s_delay_alu instid0(SALU_CYCLE_1) | instskip(SKIP_1) | instid1(SALU_CYCLE_1)
	s_and_not1_b32 s9, s9, exec_lo
	s_and_b32 s11, s11, exec_lo
	s_or_b32 s9, s9, s11
.LBB1_8:                                ;   in Loop: Header=BB1_4 Depth=1
	s_or_b32 exec_lo, exec_lo, s10
	s_delay_alu instid0(VALU_DEP_2)
	s_and_saveexec_b32 s10, s9
	s_cbranch_execz .LBB1_10
; %bb.9:                                ;   in Loop: Header=BB1_4 Depth=1
	global_store_b8 v5, v6, s[0:1]
.LBB1_10:                               ;   in Loop: Header=BB1_4 Depth=1
	s_or_b32 exec_lo, exec_lo, s10
	s_load_b32 s9, s[6:7], 0xc
	s_waitcnt lgkmcnt(0)
	s_and_b32 s9, s9, 0xffff
	s_delay_alu instid0(SALU_CYCLE_1) | instskip(NEXT) | instid1(SALU_CYCLE_1)
	s_mul_i32 s9, s15, s9
	v_add3_u32 v4, s9, s8, v0
	s_mov_b32 s9, exec_lo
	s_delay_alu instid0(VALU_DEP_1)
	v_dual_mov_b32 v1, v4 :: v_dual_mov_b32 v2, v5
	v_cmpx_le_u64_e64 s[4:5], v[4:5]
	s_cbranch_execz .LBB1_3
; %bb.11:                               ;   in Loop: Header=BB1_4 Depth=1
	v_mul_hi_u32 v1, v4, v7
	s_delay_alu instid0(VALU_DEP_1) | instskip(NEXT) | instid1(VALU_DEP_1)
	v_mul_lo_u32 v1, v1, s4
	v_sub_nc_u32_e32 v1, v4, v1
	s_delay_alu instid0(VALU_DEP_1) | instskip(SKIP_1) | instid1(VALU_DEP_2)
	v_subrev_nc_u32_e32 v2, s4, v1
	v_cmp_le_u32_e32 vcc_lo, s4, v1
	v_cndmask_b32_e32 v1, v1, v2, vcc_lo
	s_delay_alu instid0(VALU_DEP_1) | instskip(SKIP_1) | instid1(VALU_DEP_2)
	v_subrev_nc_u32_e32 v2, s4, v1
	v_cmp_le_u32_e32 vcc_lo, s4, v1
	v_cndmask_b32_e32 v1, v1, v2, vcc_lo
	s_branch .LBB1_3
.LBB1_12:
	s_nop 0
	s_sendmsg sendmsg(MSG_DEALLOC_VGPRS)
	s_endpgm
	.section	.rodata,"a",@progbits
	.p2align	6, 0x0
	.amdhsa_kernel _Z11test_sharedPbPKjm
		.amdhsa_group_segment_fixed_size 16
		.amdhsa_private_segment_fixed_size 0
		.amdhsa_kernarg_size 280
		.amdhsa_user_sgpr_count 15
		.amdhsa_user_sgpr_dispatch_ptr 0
		.amdhsa_user_sgpr_queue_ptr 0
		.amdhsa_user_sgpr_kernarg_segment_ptr 1
		.amdhsa_user_sgpr_dispatch_id 0
		.amdhsa_user_sgpr_private_segment_size 0
		.amdhsa_wavefront_size32 1
		.amdhsa_uses_dynamic_stack 0
		.amdhsa_enable_private_segment 0
		.amdhsa_system_sgpr_workgroup_id_x 1
		.amdhsa_system_sgpr_workgroup_id_y 0
		.amdhsa_system_sgpr_workgroup_id_z 0
		.amdhsa_system_sgpr_workgroup_info 0
		.amdhsa_system_vgpr_workitem_id 0
		.amdhsa_next_free_vgpr 14
		.amdhsa_next_free_sgpr 16
		.amdhsa_reserve_vcc 1
		.amdhsa_float_round_mode_32 0
		.amdhsa_float_round_mode_16_64 0
		.amdhsa_float_denorm_mode_32 3
		.amdhsa_float_denorm_mode_16_64 3
		.amdhsa_dx10_clamp 1
		.amdhsa_ieee_mode 1
		.amdhsa_fp16_overflow 0
		.amdhsa_workgroup_processor_mode 1
		.amdhsa_memory_ordered 1
		.amdhsa_forward_progress 0
		.amdhsa_shared_vgpr_count 0
		.amdhsa_exception_fp_ieee_invalid_op 0
		.amdhsa_exception_fp_denorm_src 0
		.amdhsa_exception_fp_ieee_div_zero 0
		.amdhsa_exception_fp_ieee_overflow 0
		.amdhsa_exception_fp_ieee_underflow 0
		.amdhsa_exception_fp_ieee_inexact 0
		.amdhsa_exception_int_div_zero 0
	.end_amdhsa_kernel
	.text
.Lfunc_end1:
	.size	_Z11test_sharedPbPKjm, .Lfunc_end1-_Z11test_sharedPbPKjm
                                        ; -- End function
	.section	.AMDGPU.csdata,"",@progbits
; Kernel info:
; codeLenInByte = 784
; NumSgprs: 18
; NumVgprs: 14
; ScratchSize: 0
; MemoryBound: 0
; FloatMode: 240
; IeeeMode: 1
; LDSByteSize: 16 bytes/workgroup (compile time only)
; SGPRBlocks: 2
; VGPRBlocks: 1
; NumSGPRsForWavesPerEU: 18
; NumVGPRsForWavesPerEU: 14
; Occupancy: 16
; WaveLimiterHint : 0
; COMPUTE_PGM_RSRC2:SCRATCH_EN: 0
; COMPUTE_PGM_RSRC2:USER_SGPR: 15
; COMPUTE_PGM_RSRC2:TRAP_HANDLER: 0
; COMPUTE_PGM_RSRC2:TGID_X_EN: 1
; COMPUTE_PGM_RSRC2:TGID_Y_EN: 0
; COMPUTE_PGM_RSRC2:TGID_Z_EN: 0
; COMPUTE_PGM_RSRC2:TIDIG_COMP_CNT: 0
	.text
	.protected	_Z9test_flatPoPbPKjm    ; -- Begin function _Z9test_flatPoPbPKjm
	.globl	_Z9test_flatPoPbPKjm
	.p2align	8
	.type	_Z9test_flatPoPbPKjm,@function
_Z9test_flatPoPbPKjm:                   ; @_Z9test_flatPoPbPKjm
; %bb.0:
	s_mov_b32 s2, 0
	s_mov_b32 s3, exec_lo
	v_cmpx_eq_u32_e32 0, v0
	s_cbranch_execz .LBB2_2
; %bb.1:
	v_mov_b32_e32 v1, 0
	s_delay_alu instid0(VALU_DEP_1)
	v_mov_b32_e32 v2, v1
	v_mov_b32_e32 v3, v1
	;; [unrolled: 1-line block ×3, first 2 shown]
	ds_store_b128 v1, v[1:4]
.LBB2_2:
	s_or_b32 exec_lo, exec_lo, s3
	s_load_b256 s[4:11], s[0:1], 0x0
	s_add_u32 s12, s0, 32
	s_addc_u32 s13, s1, 0
	s_mov_b64 s[16:17], 1
	s_mov_b64 s[0:1], src_shared_base
	s_mov_b64 s[18:19], src_private_base
	s_waitcnt lgkmcnt(0)
	s_barrier
	buffer_gl0_inv
	v_dual_mov_b32 v12, 1 :: v_dual_mov_b32 v5, 0
	v_cvt_f32_u32_e32 v1, s10
	v_cvt_f32_u32_e32 v2, s11
	;; [unrolled: 1-line block ×3, first 2 shown]
	s_sub_i32 s14, 0, s10
	s_delay_alu instid0(VALU_DEP_2) | instskip(NEXT) | instid1(VALU_DEP_2)
	v_fmac_f32_e32 v1, 0x4f800000, v2
	v_rcp_iflag_f32_e32 v2, v3
	s_delay_alu instid0(VALU_DEP_1) | instskip(SKIP_3) | instid1(VALU_DEP_2)
	v_rcp_f32_e32 v1, v1
	s_waitcnt_depctr 0xfff
	v_mul_f32_e32 v2, 0x4f7ffffe, v2
	v_mul_f32_e32 v1, 0x5f7ffffc, v1
	v_cvt_u32_f32_e32 v9, v2
	s_delay_alu instid0(VALU_DEP_1) | instskip(NEXT) | instid1(VALU_DEP_1)
	v_mul_lo_u32 v3, s14, v9
	v_mul_hi_u32 v3, v9, v3
	s_delay_alu instid0(VALU_DEP_1) | instskip(NEXT) | instid1(VALU_DEP_1)
	v_dual_mul_f32 v2, 0x2f800000, v1 :: v_dual_add_nc_u32 v13, v9, v3
	v_trunc_f32_e32 v2, v2
	s_delay_alu instid0(VALU_DEP_1) | instskip(SKIP_1) | instid1(VALU_DEP_2)
	v_fmac_f32_e32 v1, 0xcf800000, v2
	v_cvt_u32_f32_e32 v10, v2
	v_cvt_u32_f32_e32 v11, v1
	s_branch .LBB2_4
.LBB2_3:                                ;   in Loop: Header=BB2_4 Depth=1
	v_add_nc_u32_e32 v0, 1, v0
	s_add_u32 s16, s16, 2
	s_addc_u32 s17, s17, 0
	s_cmpk_lg_i32 s16, 0x7d1
	s_cbranch_scc0 .LBB2_36
.LBB2_4:                                ; =>This Inner Loop Header: Depth=1
	s_add_u32 s20, s16, -1
	s_addc_u32 s21, s17, -1
	s_delay_alu instid0(SALU_CYCLE_1) | instskip(NEXT) | instid1(SALU_CYCLE_1)
	s_or_b64 s[22:23], s[20:21], s[10:11]
	s_mov_b32 s3, s23
	s_delay_alu instid0(SALU_CYCLE_1)
	s_cmp_lg_u64 s[2:3], 0
	s_cbranch_scc0 .LBB2_11
; %bb.5:                                ;   in Loop: Header=BB2_4 Depth=1
	v_readfirstlane_b32 s0, v11
	v_readfirstlane_b32 s3, v10
	s_sub_u32 s18, 0, s10
	s_subb_u32 s22, 0, s11
	s_delay_alu instid0(VALU_DEP_2) | instskip(NEXT) | instid1(VALU_DEP_1)
	s_mul_hi_u32 s23, s18, s0
	s_mul_i32 s24, s18, s3
	s_mul_i32 s25, s22, s0
	s_add_i32 s23, s23, s24
	s_mul_i32 s24, s18, s0
	s_add_i32 s23, s23, s25
	s_mul_hi_u32 s25, s0, s24
	s_mul_i32 s26, s0, s23
	s_mul_hi_u32 s0, s0, s23
	s_add_u32 s25, s25, s26
	s_mul_i32 s27, s3, s24
	s_addc_u32 s0, 0, s0
	s_mul_hi_u32 s24, s3, s24
	s_mul_hi_u32 s26, s3, s23
	s_add_u32 s25, s25, s27
	s_addc_u32 s0, s0, s24
	s_mul_i32 s23, s3, s23
	s_addc_u32 s24, s26, 0
	s_add_u32 s0, s0, s23
	s_addc_u32 s23, 0, s24
	v_add_co_u32 v1, s0, v11, s0
	s_delay_alu instid0(VALU_DEP_1) | instskip(SKIP_1) | instid1(VALU_DEP_1)
	s_cmp_lg_u32 s0, 0
	s_addc_u32 s3, s3, s23
	v_readfirstlane_b32 s0, v1
	s_mul_i32 s23, s18, s3
	s_delay_alu instid0(VALU_DEP_1)
	s_mul_hi_u32 s24, s18, s0
	s_mul_i32 s22, s22, s0
	s_add_i32 s23, s24, s23
	s_mul_i32 s18, s18, s0
	s_add_i32 s23, s23, s22
	s_mul_hi_u32 s22, s3, s18
	s_mul_i32 s25, s3, s18
	s_mul_i32 s26, s0, s23
	s_mul_hi_u32 s18, s0, s18
	s_mul_hi_u32 s0, s0, s23
	s_add_u32 s18, s18, s26
	s_addc_u32 s0, 0, s0
	s_mul_hi_u32 s24, s3, s23
	s_add_u32 s18, s18, s25
	s_addc_u32 s0, s0, s22
	s_mul_i32 s18, s3, s23
	s_addc_u32 s22, s24, 0
	s_add_u32 s0, s0, s18
	s_addc_u32 s18, 0, s22
	v_add_co_u32 v1, s0, v1, s0
	s_delay_alu instid0(VALU_DEP_1) | instskip(SKIP_1) | instid1(VALU_DEP_1)
	s_cmp_lg_u32 s0, 0
	s_addc_u32 s3, s3, s18
	v_readfirstlane_b32 s0, v1
	s_mul_i32 s18, s20, s3
	s_mul_hi_u32 s23, s20, s3
	s_delay_alu instid0(VALU_DEP_1)
	s_mul_hi_u32 s22, s20, s0
	s_mul_i32 s24, s21, s0
	s_add_u32 s18, s22, s18
	s_addc_u32 s22, 0, s23
	s_mul_hi_u32 s0, s21, s0
	s_mul_hi_u32 s23, s21, s3
	s_add_u32 s18, s18, s24
	s_addc_u32 s0, s22, s0
	s_mul_i32 s3, s21, s3
	s_addc_u32 s18, s23, 0
	s_add_u32 s0, s0, s3
	s_addc_u32 s3, 0, s18
	s_mul_hi_u32 s18, s10, s0
	s_mul_i32 s3, s10, s3
	s_delay_alu instid0(SALU_CYCLE_1)
	s_add_i32 s3, s18, s3
	s_mul_i32 s18, s11, s0
	s_mul_i32 s0, s10, s0
	s_add_i32 s3, s3, s18
	v_sub_co_u32 v1, s0, s20, s0
	s_sub_i32 s18, s21, s3
	s_cmp_lg_u32 s0, 0
	s_delay_alu instid0(VALU_DEP_1) | instskip(SKIP_3) | instid1(VALU_DEP_1)
	v_sub_co_u32 v2, s22, v1, s10
	s_subb_u32 s18, s18, s11
	s_cmp_lg_u32 s22, 0
	s_subb_u32 s23, s18, 0
	v_cmp_le_u32_e32 vcc_lo, s10, v2
	s_cmp_ge_u32 s23, s11
	s_cselect_b32 s24, -1, 0
	s_cmp_eq_u32 s23, s11
	v_cndmask_b32_e64 v3, 0, -1, vcc_lo
	s_cselect_b32 vcc_lo, -1, 0
	s_cmp_lg_u32 s22, 0
	v_sub_co_u32 v4, s22, v2, s10
	s_subb_u32 s18, s18, s11
	s_cmp_lg_u32 s22, 0
	v_cndmask_b32_e32 v3, s24, v3, vcc_lo
	s_subb_u32 s18, s18, 0
	s_cmp_lg_u32 s0, 0
	v_cmp_le_u32_e64 s0, s10, v1
	s_subb_u32 s3, s21, s3
	v_cmp_ne_u32_e32 vcc_lo, 0, v3
	s_cmp_ge_u32 s3, s11
	s_delay_alu instid0(VALU_DEP_2)
	v_cndmask_b32_e64 v3, 0, -1, s0
	s_cselect_b32 s21, -1, 0
	s_cmp_eq_u32 s3, s11
	v_cndmask_b32_e32 v4, v2, v4, vcc_lo
	s_cselect_b32 s0, -1, 0
	v_mov_b32_e32 v6, s18
	v_cndmask_b32_e64 v3, s21, v3, s0
	s_delay_alu instid0(VALU_DEP_2) | instskip(NEXT) | instid1(VALU_DEP_2)
	v_cndmask_b32_e32 v2, s23, v6, vcc_lo
	v_cmp_ne_u32_e32 vcc_lo, 0, v3
	v_cndmask_b32_e32 v1, v1, v4, vcc_lo
	s_delay_alu instid0(VALU_DEP_3)
	v_cndmask_b32_e32 v2, s3, v2, vcc_lo
	s_cbranch_execnz .LBB2_7
.LBB2_6:                                ;   in Loop: Header=BB2_4 Depth=1
	v_readfirstlane_b32 s0, v9
	s_mov_b32 s21, s2
	s_delay_alu instid0(VALU_DEP_1) | instskip(NEXT) | instid1(SALU_CYCLE_1)
	s_mul_i32 s3, s14, s0
	s_mul_hi_u32 s3, s0, s3
	s_delay_alu instid0(SALU_CYCLE_1) | instskip(NEXT) | instid1(SALU_CYCLE_1)
	s_add_i32 s0, s0, s3
	s_mul_hi_u32 s0, s20, s0
	s_delay_alu instid0(SALU_CYCLE_1) | instskip(NEXT) | instid1(SALU_CYCLE_1)
	s_mul_i32 s0, s0, s10
	s_sub_i32 s0, s20, s0
	s_delay_alu instid0(SALU_CYCLE_1) | instskip(SKIP_2) | instid1(SALU_CYCLE_1)
	s_sub_i32 s3, s0, s10
	s_cmp_ge_u32 s0, s10
	s_cselect_b32 s0, s3, s0
	s_sub_i32 s3, s0, s10
	s_cmp_ge_u32 s0, s10
	s_cselect_b32 s20, s3, s0
	s_delay_alu instid0(SALU_CYCLE_1)
	v_dual_mov_b32 v1, s20 :: v_dual_mov_b32 v2, s21
.LBB2_7:                                ;   in Loop: Header=BB2_4 Depth=1
	s_delay_alu instid0(VALU_DEP_1) | instskip(NEXT) | instid1(VALU_DEP_1)
	v_lshlrev_b64 v[1:2], 2, v[1:2]
	v_add_co_u32 v1, vcc_lo, s8, v1
	s_delay_alu instid0(VALU_DEP_2) | instskip(SKIP_3) | instid1(VALU_DEP_1)
	v_add_co_ci_u32_e32 v2, vcc_lo, s9, v2, vcc_lo
	global_load_b32 v1, v[1:2], off
	s_waitcnt vmcnt(0)
	v_readfirstlane_b32 s0, v1
	s_bitcmp0_b32 s0, 0
	s_cselect_b32 s21, s5, s1
	s_cselect_b32 s20, s4, 0
	s_cmp_eq_u32 s21, s1
	s_cselect_b32 s0, -1, 0
	s_delay_alu instid0(SALU_CYCLE_1)
	s_and_not1_b32 vcc_lo, exec_lo, s0
	s_cbranch_vccz .LBB2_10
; %bb.8:                                ;   in Loop: Header=BB2_4 Depth=1
	s_cmp_eq_u32 s21, s19
	s_cselect_b32 s0, -1, 0
	s_delay_alu instid0(SALU_CYCLE_1)
	s_and_not1_b32 vcc_lo, exec_lo, s0
	s_cbranch_vccz .LBB2_12
; %bb.9:                                ;   in Loop: Header=BB2_4 Depth=1
	v_dual_mov_b32 v1, s20 :: v_dual_mov_b32 v2, s21
	;;#ASMSTART
	global_load_dwordx4 v[1:4], v[1:2] off glc	
s_waitcnt vmcnt(0)
	;;#ASMEND
	s_cbranch_execz .LBB2_13
	s_branch .LBB2_14
.LBB2_10:                               ;   in Loop: Header=BB2_4 Depth=1
                                        ; implicit-def: $vgpr4
	s_branch .LBB2_15
.LBB2_11:                               ;   in Loop: Header=BB2_4 Depth=1
                                        ; implicit-def: $vgpr1_vgpr2
	s_branch .LBB2_6
.LBB2_12:                               ;   in Loop: Header=BB2_4 Depth=1
                                        ; implicit-def: $vgpr4
.LBB2_13:                               ;   in Loop: Header=BB2_4 Depth=1
	v_dual_mov_b32 v1, s20 :: v_dual_mov_b32 v2, s21
	;;#ASMSTART
	flat_load_dwordx4 v[1:4], v[1:2] glc	
s_waitcnt vmcnt(0)
	;;#ASMEND
.LBB2_14:                               ;   in Loop: Header=BB2_4 Depth=1
	s_cbranch_execnz .LBB2_16
.LBB2_15:                               ;   in Loop: Header=BB2_4 Depth=1
	s_cmp_lg_u64 s[20:21], 0
	s_cselect_b32 s0, s20, -1
	s_delay_alu instid0(SALU_CYCLE_1)
	v_mov_b32_e32 v1, s0
	;;#ASMSTART
	ds_read_b128 v[1:4], v1 	
s_waitcnt lgkmcnt(0)
	;;#ASMEND
.LBB2_16:                               ;   in Loop: Header=BB2_4 Depth=1
	v_lshl_add_u32 v4, v4, 1, v4
	s_mov_b32 s3, exec_lo
	s_delay_alu instid0(VALU_DEP_1) | instskip(NEXT) | instid1(VALU_DEP_1)
	v_lshlrev_b64 v[6:7], 2, v[4:5]
	v_add_co_u32 v6, vcc_lo, s8, v6
	s_delay_alu instid0(VALU_DEP_2)
	v_add_co_ci_u32_e32 v7, vcc_lo, s9, v7, vcc_lo
	global_load_b32 v6, v[6:7], off
	s_waitcnt vmcnt(0)
	v_cmp_ne_u32_e64 s0, v6, v3
	v_cmpx_eq_u32_e64 v6, v3
	s_cbranch_execz .LBB2_20
; %bb.17:                               ;   in Loop: Header=BB2_4 Depth=1
	v_dual_mov_b32 v7, v5 :: v_dual_add_nc_u32 v6, 1, v4
	s_mov_b32 s20, exec_lo
	s_delay_alu instid0(VALU_DEP_1) | instskip(NEXT) | instid1(VALU_DEP_1)
	v_lshlrev_b64 v[6:7], 2, v[6:7]
	v_add_co_u32 v6, vcc_lo, s8, v6
	s_delay_alu instid0(VALU_DEP_2)
	v_add_co_ci_u32_e32 v7, vcc_lo, s9, v7, vcc_lo
	global_load_b32 v3, v[6:7], off
	s_waitcnt vmcnt(0)
	v_cmp_ne_u32_e64 s18, v3, v2
	v_cmpx_eq_u32_e64 v3, v2
	s_cbranch_execz .LBB2_19
; %bb.18:                               ;   in Loop: Header=BB2_4 Depth=1
	v_add_nc_u32_e32 v4, 2, v4
	s_delay_alu instid0(VALU_DEP_3) | instskip(NEXT) | instid1(VALU_DEP_1)
	s_and_not1_b32 s18, s18, exec_lo
	v_lshlrev_b64 v[2:3], 2, v[4:5]
	s_delay_alu instid0(VALU_DEP_1) | instskip(NEXT) | instid1(VALU_DEP_2)
	v_add_co_u32 v2, vcc_lo, s8, v2
	v_add_co_ci_u32_e32 v3, vcc_lo, s9, v3, vcc_lo
	global_load_b32 v2, v[2:3], off
	s_waitcnt vmcnt(0)
	v_cmp_ne_u32_e32 vcc_lo, v2, v1
	s_and_b32 s21, vcc_lo, exec_lo
	s_delay_alu instid0(SALU_CYCLE_1)
	s_or_b32 s18, s18, s21
.LBB2_19:                               ;   in Loop: Header=BB2_4 Depth=1
	s_or_b32 exec_lo, exec_lo, s20
	s_delay_alu instid0(SALU_CYCLE_1) | instskip(SKIP_1) | instid1(SALU_CYCLE_1)
	s_and_not1_b32 s0, s0, exec_lo
	s_and_b32 s18, s18, exec_lo
	s_or_b32 s0, s0, s18
.LBB2_20:                               ;   in Loop: Header=BB2_4 Depth=1
	s_or_b32 exec_lo, exec_lo, s3
	s_delay_alu instid0(VALU_DEP_2)
	s_and_saveexec_b32 s3, s0
	s_cbranch_execz .LBB2_22
; %bb.21:                               ;   in Loop: Header=BB2_4 Depth=1
	global_store_b8 v5, v12, s[6:7]
.LBB2_22:                               ;   in Loop: Header=BB2_4 Depth=1
	s_or_b32 exec_lo, exec_lo, s3
	s_load_b32 s0, s[12:13], 0xc
	s_waitcnt lgkmcnt(0)
	s_and_b32 s0, s0, 0xffff
	s_delay_alu instid0(SALU_CYCLE_1) | instskip(SKIP_1) | instid1(VALU_DEP_1)
	v_mad_u64_u32 v[1:2], null, s15, s0, v[0:1]
	s_mov_b32 s0, exec_lo
	v_mov_b32_e32 v4, v1
	s_delay_alu instid0(VALU_DEP_1)
	v_dual_mov_b32 v7, v5 :: v_dual_mov_b32 v6, v4
	v_cmpx_le_u64_e64 s[10:11], v[4:5]
; %bb.23:                               ;   in Loop: Header=BB2_4 Depth=1
	v_mul_hi_u32 v1, v4, v13
	s_delay_alu instid0(VALU_DEP_1) | instskip(NEXT) | instid1(VALU_DEP_1)
	v_mul_lo_u32 v1, v1, s10
	v_sub_nc_u32_e32 v1, v4, v1
	s_delay_alu instid0(VALU_DEP_1) | instskip(SKIP_1) | instid1(VALU_DEP_2)
	v_subrev_nc_u32_e32 v2, s10, v1
	v_cmp_le_u32_e32 vcc_lo, s10, v1
	v_cndmask_b32_e32 v1, v1, v2, vcc_lo
	s_delay_alu instid0(VALU_DEP_1) | instskip(SKIP_1) | instid1(VALU_DEP_2)
	v_subrev_nc_u32_e32 v2, s10, v1
	v_cmp_le_u32_e32 vcc_lo, s10, v1
	v_cndmask_b32_e32 v6, v1, v2, vcc_lo
; %bb.24:                               ;   in Loop: Header=BB2_4 Depth=1
	s_or_b32 exec_lo, exec_lo, s0
	s_delay_alu instid0(VALU_DEP_1) | instskip(SKIP_2) | instid1(SALU_CYCLE_1)
	v_lshl_add_u32 v4, v6, 1, v6
	v_mov_b32_e32 v2, v5
	s_or_b64 s[20:21], s[16:17], s[10:11]
	s_mov_b32 s3, s21
	s_delay_alu instid0(VALU_DEP_2) | instskip(SKIP_3) | instid1(VALU_DEP_3)
	v_add_nc_u32_e32 v1, 1, v4
	v_lshlrev_b64 v[7:8], 2, v[4:5]
	v_add_nc_u32_e32 v4, 2, v4
	s_cmp_lg_u64 s[2:3], 0
	v_lshlrev_b64 v[1:2], 2, v[1:2]
	s_delay_alu instid0(VALU_DEP_2) | instskip(NEXT) | instid1(VALU_DEP_4)
	v_lshlrev_b64 v[3:4], 2, v[4:5]
	v_add_co_u32 v7, vcc_lo, s8, v7
	v_add_co_ci_u32_e32 v8, vcc_lo, s9, v8, vcc_lo
	s_delay_alu instid0(VALU_DEP_4)
	v_add_co_u32 v1, vcc_lo, s8, v1
	v_add_co_ci_u32_e32 v2, vcc_lo, s9, v2, vcc_lo
	v_add_co_u32 v14, vcc_lo, s8, v3
	v_add_co_ci_u32_e32 v15, vcc_lo, s9, v4, vcc_lo
	s_clause 0x2
	global_load_b32 v3, v[7:8], off
	global_load_b32 v2, v[1:2], off
	;; [unrolled: 1-line block ×3, first 2 shown]
	s_cbranch_scc0 .LBB2_35
; %bb.25:                               ;   in Loop: Header=BB2_4 Depth=1
	v_readfirstlane_b32 s0, v11
	v_readfirstlane_b32 s3, v10
	s_sub_u32 s18, 0, s10
	s_subb_u32 s20, 0, s11
	s_delay_alu instid0(VALU_DEP_2) | instskip(NEXT) | instid1(VALU_DEP_1)
	s_mul_hi_u32 s21, s18, s0
	s_mul_i32 s22, s18, s3
	s_mul_i32 s23, s20, s0
	s_add_i32 s21, s21, s22
	s_mul_i32 s22, s18, s0
	s_add_i32 s21, s21, s23
	s_mul_hi_u32 s23, s0, s22
	s_mul_i32 s24, s0, s21
	s_mul_hi_u32 s0, s0, s21
	s_add_u32 s23, s23, s24
	s_mul_i32 s25, s3, s22
	s_addc_u32 s0, 0, s0
	s_mul_hi_u32 s22, s3, s22
	s_mul_hi_u32 s24, s3, s21
	s_add_u32 s23, s23, s25
	s_addc_u32 s0, s0, s22
	s_mul_i32 s21, s3, s21
	s_addc_u32 s22, s24, 0
	s_add_u32 s0, s0, s21
	s_addc_u32 s21, 0, s22
	v_add_co_u32 v4, s0, v11, s0
	s_delay_alu instid0(VALU_DEP_1) | instskip(SKIP_1) | instid1(VALU_DEP_1)
	s_cmp_lg_u32 s0, 0
	s_addc_u32 s3, s3, s21
	v_readfirstlane_b32 s0, v4
	s_mul_i32 s21, s18, s3
	s_delay_alu instid0(VALU_DEP_1)
	s_mul_hi_u32 s22, s18, s0
	s_mul_i32 s20, s20, s0
	s_add_i32 s21, s22, s21
	s_mul_i32 s18, s18, s0
	s_add_i32 s21, s21, s20
	s_mul_hi_u32 s20, s3, s18
	s_mul_i32 s23, s3, s18
	s_mul_i32 s24, s0, s21
	s_mul_hi_u32 s18, s0, s18
	s_mul_hi_u32 s0, s0, s21
	s_add_u32 s18, s18, s24
	s_addc_u32 s0, 0, s0
	s_mul_hi_u32 s22, s3, s21
	s_add_u32 s18, s18, s23
	s_addc_u32 s0, s0, s20
	s_mul_i32 s18, s3, s21
	s_addc_u32 s20, s22, 0
	s_add_u32 s0, s0, s18
	s_addc_u32 s18, 0, s20
	v_add_co_u32 v4, s0, v4, s0
	s_delay_alu instid0(VALU_DEP_1) | instskip(SKIP_1) | instid1(VALU_DEP_1)
	s_cmp_lg_u32 s0, 0
	s_addc_u32 s3, s3, s18
	v_readfirstlane_b32 s0, v4
	s_mul_i32 s18, s16, s3
	s_mul_hi_u32 s21, s16, s3
	s_delay_alu instid0(VALU_DEP_1)
	s_mul_hi_u32 s20, s16, s0
	s_mul_i32 s22, s17, s0
	s_add_u32 s18, s20, s18
	s_addc_u32 s20, 0, s21
	s_mul_hi_u32 s0, s17, s0
	s_mul_hi_u32 s21, s17, s3
	s_add_u32 s18, s18, s22
	s_addc_u32 s0, s20, s0
	s_mul_i32 s3, s17, s3
	s_addc_u32 s18, s21, 0
	s_add_u32 s0, s0, s3
	s_addc_u32 s3, 0, s18
	s_mul_hi_u32 s18, s10, s0
	s_mul_i32 s3, s10, s3
	s_delay_alu instid0(SALU_CYCLE_1)
	s_add_i32 s3, s18, s3
	s_mul_i32 s18, s11, s0
	s_mul_i32 s0, s10, s0
	s_add_i32 s3, s3, s18
	v_sub_co_u32 v4, s0, s16, s0
	s_sub_i32 s18, s17, s3
	s_cmp_lg_u32 s0, 0
	s_delay_alu instid0(VALU_DEP_1) | instskip(SKIP_3) | instid1(VALU_DEP_1)
	v_sub_co_u32 v7, s20, v4, s10
	s_subb_u32 s18, s18, s11
	s_cmp_lg_u32 s20, 0
	s_subb_u32 s21, s18, 0
	v_cmp_le_u32_e32 vcc_lo, s10, v7
	s_cmp_ge_u32 s21, s11
	s_cselect_b32 s22, -1, 0
	s_cmp_eq_u32 s21, s11
	v_cndmask_b32_e64 v8, 0, -1, vcc_lo
	s_cselect_b32 vcc_lo, -1, 0
	s_cmp_lg_u32 s20, 0
	v_sub_co_u32 v14, s20, v7, s10
	s_subb_u32 s18, s18, s11
	s_cmp_lg_u32 s20, 0
	v_cndmask_b32_e32 v8, s22, v8, vcc_lo
	s_subb_u32 s18, s18, 0
	s_cmp_lg_u32 s0, 0
	v_cmp_le_u32_e64 s0, s10, v4
	s_subb_u32 s3, s17, s3
	v_cmp_ne_u32_e32 vcc_lo, 0, v8
	s_cmp_ge_u32 s3, s11
	v_mov_b32_e32 v15, s18
	v_cndmask_b32_e64 v8, 0, -1, s0
	s_cselect_b32 s20, -1, 0
	s_cmp_eq_u32 s3, s11
	v_cndmask_b32_e32 v7, v7, v14, vcc_lo
	s_cselect_b32 s0, -1, 0
	v_cndmask_b32_e32 v14, s21, v15, vcc_lo
	v_cndmask_b32_e64 v8, s20, v8, s0
	s_delay_alu instid0(VALU_DEP_1) | instskip(NEXT) | instid1(VALU_DEP_3)
	v_cmp_ne_u32_e32 vcc_lo, 0, v8
	v_cndmask_b32_e32 v8, s3, v14, vcc_lo
	v_cndmask_b32_e32 v7, v4, v7, vcc_lo
	s_cbranch_execnz .LBB2_27
.LBB2_26:                               ;   in Loop: Header=BB2_4 Depth=1
	v_readfirstlane_b32 s0, v9
	s_mov_b32 s21, s2
	s_delay_alu instid0(VALU_DEP_1) | instskip(NEXT) | instid1(SALU_CYCLE_1)
	s_mul_i32 s3, s14, s0
	s_mul_hi_u32 s3, s0, s3
	s_delay_alu instid0(SALU_CYCLE_1) | instskip(NEXT) | instid1(SALU_CYCLE_1)
	s_add_i32 s0, s0, s3
	s_mul_hi_u32 s0, s16, s0
	s_delay_alu instid0(SALU_CYCLE_1) | instskip(NEXT) | instid1(SALU_CYCLE_1)
	s_mul_i32 s0, s0, s10
	s_sub_i32 s0, s16, s0
	s_delay_alu instid0(SALU_CYCLE_1) | instskip(SKIP_2) | instid1(SALU_CYCLE_1)
	s_sub_i32 s3, s0, s10
	s_cmp_ge_u32 s0, s10
	s_cselect_b32 s0, s3, s0
	s_sub_i32 s3, s0, s10
	s_cmp_ge_u32 s0, s10
	s_cselect_b32 s20, s3, s0
	s_delay_alu instid0(SALU_CYCLE_1)
	v_dual_mov_b32 v7, s20 :: v_dual_mov_b32 v8, s21
.LBB2_27:                               ;   in Loop: Header=BB2_4 Depth=1
	s_delay_alu instid0(VALU_DEP_1) | instskip(NEXT) | instid1(VALU_DEP_1)
	v_lshlrev_b64 v[7:8], 2, v[7:8]
	v_add_co_u32 v7, vcc_lo, s8, v7
	s_delay_alu instid0(VALU_DEP_2) | instskip(SKIP_4) | instid1(VALU_DEP_2)
	v_add_co_ci_u32_e32 v8, vcc_lo, s9, v8, vcc_lo
	global_load_b32 v4, v[7:8], off
	s_waitcnt vmcnt(0)
	v_readfirstlane_b32 s0, v4
	v_mov_b32_e32 v4, v6
	s_bitcmp0_b32 s0, 0
	s_cselect_b32 s21, s5, s1
	s_cselect_b32 s20, s4, 0
	s_cmp_eq_u32 s21, s1
	s_cselect_b32 s0, -1, 0
	s_delay_alu instid0(SALU_CYCLE_1)
	s_and_not1_b32 vcc_lo, exec_lo, s0
	s_mov_b32 s0, -1
	s_cbranch_vccz .LBB2_33
; %bb.28:                               ;   in Loop: Header=BB2_4 Depth=1
	s_cmp_eq_u32 s21, s19
	s_cselect_b32 s0, -1, 0
	s_delay_alu instid0(SALU_CYCLE_1)
	s_and_not1_b32 vcc_lo, exec_lo, s0
	s_mov_b32 s0, -1
	s_cbranch_vccz .LBB2_30
; %bb.29:                               ;   in Loop: Header=BB2_4 Depth=1
	v_dual_mov_b32 v6, s20 :: v_dual_mov_b32 v7, s21
	;;#ASMSTART
	global_store_dwordx4 v[6:7], v[1:4] off	
s_waitcnt vmcnt(0)
	;;#ASMEND
	s_mov_b32 s0, 0
.LBB2_30:                               ;   in Loop: Header=BB2_4 Depth=1
	s_delay_alu instid0(SALU_CYCLE_1)
	s_and_not1_b32 vcc_lo, exec_lo, s0
	s_cbranch_vccnz .LBB2_32
; %bb.31:                               ;   in Loop: Header=BB2_4 Depth=1
	v_dual_mov_b32 v6, s20 :: v_dual_mov_b32 v7, s21
	;;#ASMSTART
	flat_store_dwordx4 v[6:7], v[1:4] 	
s_waitcnt vmcnt(0)
	;;#ASMEND
.LBB2_32:                               ;   in Loop: Header=BB2_4 Depth=1
	s_mov_b32 s0, 0
.LBB2_33:                               ;   in Loop: Header=BB2_4 Depth=1
	s_delay_alu instid0(SALU_CYCLE_1)
	s_and_not1_b32 vcc_lo, exec_lo, s0
	s_cbranch_vccnz .LBB2_3
; %bb.34:                               ;   in Loop: Header=BB2_4 Depth=1
	s_cmp_lg_u64 s[20:21], 0
	s_cselect_b32 s0, s20, -1
	s_delay_alu instid0(SALU_CYCLE_1)
	v_mov_b32_e32 v6, s0
	;;#ASMSTART
	ds_write_b128 v6, v[1:4] 	
s_waitcnt lgkmcnt(0)
	;;#ASMEND
	s_branch .LBB2_3
.LBB2_35:                               ;   in Loop: Header=BB2_4 Depth=1
                                        ; implicit-def: $vgpr7_vgpr8
	s_branch .LBB2_26
.LBB2_36:
	s_nop 0
	s_sendmsg sendmsg(MSG_DEALLOC_VGPRS)
	s_endpgm
	.section	.rodata,"a",@progbits
	.p2align	6, 0x0
	.amdhsa_kernel _Z9test_flatPoPbPKjm
		.amdhsa_group_segment_fixed_size 16
		.amdhsa_private_segment_fixed_size 0
		.amdhsa_kernarg_size 288
		.amdhsa_user_sgpr_count 15
		.amdhsa_user_sgpr_dispatch_ptr 0
		.amdhsa_user_sgpr_queue_ptr 0
		.amdhsa_user_sgpr_kernarg_segment_ptr 1
		.amdhsa_user_sgpr_dispatch_id 0
		.amdhsa_user_sgpr_private_segment_size 0
		.amdhsa_wavefront_size32 1
		.amdhsa_uses_dynamic_stack 0
		.amdhsa_enable_private_segment 0
		.amdhsa_system_sgpr_workgroup_id_x 1
		.amdhsa_system_sgpr_workgroup_id_y 0
		.amdhsa_system_sgpr_workgroup_id_z 0
		.amdhsa_system_sgpr_workgroup_info 0
		.amdhsa_system_vgpr_workitem_id 0
		.amdhsa_next_free_vgpr 16
		.amdhsa_next_free_sgpr 28
		.amdhsa_reserve_vcc 1
		.amdhsa_float_round_mode_32 0
		.amdhsa_float_round_mode_16_64 0
		.amdhsa_float_denorm_mode_32 3
		.amdhsa_float_denorm_mode_16_64 3
		.amdhsa_dx10_clamp 1
		.amdhsa_ieee_mode 1
		.amdhsa_fp16_overflow 0
		.amdhsa_workgroup_processor_mode 1
		.amdhsa_memory_ordered 1
		.amdhsa_forward_progress 0
		.amdhsa_shared_vgpr_count 0
		.amdhsa_exception_fp_ieee_invalid_op 0
		.amdhsa_exception_fp_denorm_src 0
		.amdhsa_exception_fp_ieee_div_zero 0
		.amdhsa_exception_fp_ieee_overflow 0
		.amdhsa_exception_fp_ieee_underflow 0
		.amdhsa_exception_fp_ieee_inexact 0
		.amdhsa_exception_int_div_zero 0
	.end_amdhsa_kernel
	.text
.Lfunc_end2:
	.size	_Z9test_flatPoPbPKjm, .Lfunc_end2-_Z9test_flatPoPbPKjm
                                        ; -- End function
	.section	.AMDGPU.csdata,"",@progbits
; Kernel info:
; codeLenInByte = 2552
; NumSgprs: 30
; NumVgprs: 16
; ScratchSize: 0
; MemoryBound: 0
; FloatMode: 240
; IeeeMode: 1
; LDSByteSize: 16 bytes/workgroup (compile time only)
; SGPRBlocks: 3
; VGPRBlocks: 1
; NumSGPRsForWavesPerEU: 30
; NumVGPRsForWavesPerEU: 16
; Occupancy: 16
; WaveLimiterHint : 0
; COMPUTE_PGM_RSRC2:SCRATCH_EN: 0
; COMPUTE_PGM_RSRC2:USER_SGPR: 15
; COMPUTE_PGM_RSRC2:TRAP_HANDLER: 0
; COMPUTE_PGM_RSRC2:TGID_X_EN: 1
; COMPUTE_PGM_RSRC2:TGID_Y_EN: 0
; COMPUTE_PGM_RSRC2:TGID_Z_EN: 0
; COMPUTE_PGM_RSRC2:TIDIG_COMP_CNT: 0
	.text
	.p2alignl 7, 3214868480
	.fill 96, 4, 3214868480
	.type	__hip_cuid_a630d44c17cfc75a,@object ; @__hip_cuid_a630d44c17cfc75a
	.section	.bss,"aw",@nobits
	.globl	__hip_cuid_a630d44c17cfc75a
__hip_cuid_a630d44c17cfc75a:
	.byte	0                               ; 0x0
	.size	__hip_cuid_a630d44c17cfc75a, 1

	.ident	"AMD clang version 19.0.0git (https://github.com/RadeonOpenCompute/llvm-project roc-6.4.0 25133 c7fe45cf4b819c5991fe208aaa96edf142730f1d)"
	.section	".note.GNU-stack","",@progbits
	.addrsig
	.addrsig_sym __hip_cuid_a630d44c17cfc75a
	.amdgpu_metadata
---
amdhsa.kernels:
  - .args:
      - .address_space:  global
        .offset:         0
        .size:           8
        .value_kind:     global_buffer
      - .address_space:  global
        .offset:         8
        .size:           8
        .value_kind:     global_buffer
      - .address_space:  global
        .offset:         16
        .size:           8
        .value_kind:     global_buffer
      - .offset:         24
        .size:           8
        .value_kind:     by_value
      - .offset:         32
        .size:           4
        .value_kind:     hidden_block_count_x
      - .offset:         36
        .size:           4
        .value_kind:     hidden_block_count_y
      - .offset:         40
        .size:           4
        .value_kind:     hidden_block_count_z
      - .offset:         44
        .size:           2
        .value_kind:     hidden_group_size_x
      - .offset:         46
        .size:           2
        .value_kind:     hidden_group_size_y
      - .offset:         48
        .size:           2
        .value_kind:     hidden_group_size_z
      - .offset:         50
        .size:           2
        .value_kind:     hidden_remainder_x
      - .offset:         52
        .size:           2
        .value_kind:     hidden_remainder_y
      - .offset:         54
        .size:           2
        .value_kind:     hidden_remainder_z
      - .offset:         72
        .size:           8
        .value_kind:     hidden_global_offset_x
      - .offset:         80
        .size:           8
        .value_kind:     hidden_global_offset_y
      - .offset:         88
        .size:           8
        .value_kind:     hidden_global_offset_z
      - .offset:         96
        .size:           2
        .value_kind:     hidden_grid_dims
    .group_segment_fixed_size: 0
    .kernarg_segment_align: 8
    .kernarg_segment_size: 288
    .language:       OpenCL C
    .language_version:
      - 2
      - 0
    .max_flat_workgroup_size: 1024
    .name:           _Z11test_globalPoPbPKjm
    .private_segment_fixed_size: 0
    .sgpr_count:     18
    .sgpr_spill_count: 0
    .symbol:         _Z11test_globalPoPbPKjm.kd
    .uniform_work_group_size: 1
    .uses_dynamic_stack: false
    .vgpr_count:     17
    .vgpr_spill_count: 0
    .wavefront_size: 32
    .workgroup_processor_mode: 1
  - .args:
      - .address_space:  global
        .offset:         0
        .size:           8
        .value_kind:     global_buffer
      - .address_space:  global
        .offset:         8
        .size:           8
        .value_kind:     global_buffer
      - .offset:         16
        .size:           8
        .value_kind:     by_value
      - .offset:         24
        .size:           4
        .value_kind:     hidden_block_count_x
      - .offset:         28
        .size:           4
        .value_kind:     hidden_block_count_y
      - .offset:         32
        .size:           4
        .value_kind:     hidden_block_count_z
      - .offset:         36
        .size:           2
        .value_kind:     hidden_group_size_x
      - .offset:         38
        .size:           2
        .value_kind:     hidden_group_size_y
      - .offset:         40
        .size:           2
        .value_kind:     hidden_group_size_z
      - .offset:         42
        .size:           2
        .value_kind:     hidden_remainder_x
      - .offset:         44
        .size:           2
        .value_kind:     hidden_remainder_y
      - .offset:         46
        .size:           2
        .value_kind:     hidden_remainder_z
      - .offset:         64
        .size:           8
        .value_kind:     hidden_global_offset_x
      - .offset:         72
        .size:           8
        .value_kind:     hidden_global_offset_y
      - .offset:         80
        .size:           8
        .value_kind:     hidden_global_offset_z
      - .offset:         88
        .size:           2
        .value_kind:     hidden_grid_dims
    .group_segment_fixed_size: 16
    .kernarg_segment_align: 8
    .kernarg_segment_size: 280
    .language:       OpenCL C
    .language_version:
      - 2
      - 0
    .max_flat_workgroup_size: 1024
    .name:           _Z11test_sharedPbPKjm
    .private_segment_fixed_size: 0
    .sgpr_count:     18
    .sgpr_spill_count: 0
    .symbol:         _Z11test_sharedPbPKjm.kd
    .uniform_work_group_size: 1
    .uses_dynamic_stack: false
    .vgpr_count:     14
    .vgpr_spill_count: 0
    .wavefront_size: 32
    .workgroup_processor_mode: 1
  - .args:
      - .address_space:  global
        .offset:         0
        .size:           8
        .value_kind:     global_buffer
      - .address_space:  global
        .offset:         8
        .size:           8
        .value_kind:     global_buffer
      - .address_space:  global
        .offset:         16
        .size:           8
        .value_kind:     global_buffer
      - .offset:         24
        .size:           8
        .value_kind:     by_value
      - .offset:         32
        .size:           4
        .value_kind:     hidden_block_count_x
      - .offset:         36
        .size:           4
        .value_kind:     hidden_block_count_y
      - .offset:         40
        .size:           4
        .value_kind:     hidden_block_count_z
      - .offset:         44
        .size:           2
        .value_kind:     hidden_group_size_x
      - .offset:         46
        .size:           2
        .value_kind:     hidden_group_size_y
      - .offset:         48
        .size:           2
        .value_kind:     hidden_group_size_z
      - .offset:         50
        .size:           2
        .value_kind:     hidden_remainder_x
      - .offset:         52
        .size:           2
        .value_kind:     hidden_remainder_y
      - .offset:         54
        .size:           2
        .value_kind:     hidden_remainder_z
      - .offset:         72
        .size:           8
        .value_kind:     hidden_global_offset_x
      - .offset:         80
        .size:           8
        .value_kind:     hidden_global_offset_y
      - .offset:         88
        .size:           8
        .value_kind:     hidden_global_offset_z
      - .offset:         96
        .size:           2
        .value_kind:     hidden_grid_dims
    .group_segment_fixed_size: 16
    .kernarg_segment_align: 8
    .kernarg_segment_size: 288
    .language:       OpenCL C
    .language_version:
      - 2
      - 0
    .max_flat_workgroup_size: 1024
    .name:           _Z9test_flatPoPbPKjm
    .private_segment_fixed_size: 0
    .sgpr_count:     30
    .sgpr_spill_count: 0
    .symbol:         _Z9test_flatPoPbPKjm.kd
    .uniform_work_group_size: 1
    .uses_dynamic_stack: false
    .vgpr_count:     16
    .vgpr_spill_count: 0
    .wavefront_size: 32
    .workgroup_processor_mode: 1
amdhsa.target:   amdgcn-amd-amdhsa--gfx1100
amdhsa.version:
  - 1
  - 2
...

	.end_amdgpu_metadata
